;; amdgpu-corpus repo=zjin-lcf/HeCBench kind=compiled arch=gfx90a opt=O3
	.text
	.amdgcn_target "amdgcn-amd-amdhsa--gfx90a"
	.amdhsa_code_object_version 6
	.protected	_Z8DCT2D8x8PfPKfj       ; -- Begin function _Z8DCT2D8x8PfPKfj
	.globl	_Z8DCT2D8x8PfPKfj
	.p2align	8
	.type	_Z8DCT2D8x8PfPKfj,@function
_Z8DCT2D8x8PfPKfj:                      ; @_Z8DCT2D8x8PfPKfj
; %bb.0:
	s_load_dword s0, s[4:5], 0x10
	v_bfe_u32 v1, v0, 10, 10
	s_lshl_b32 s6, s6, 10
	v_lshlrev_b32_e32 v1, 6, v1
	v_add_u32_e32 v2, s6, v1
	v_or_b32_e32 v2, 63, v2
	s_waitcnt lgkmcnt(0)
	v_cmp_gt_u32_e32 vcc, s0, v2
	s_and_saveexec_b64 s[0:1], vcc
	s_cbranch_execz .LBB0_2
; %bb.1:
	s_load_dwordx4 s[0:3], s[4:5], 0x0
	s_mov_b32 s7, 0
	s_lshl_b64 s[4:5], s[6:7], 2
	v_and_b32_e32 v2, 0x3ff, v0
	v_add_lshl_u32 v0, v1, v2, 2
	s_waitcnt lgkmcnt(0)
	s_add_u32 s2, s2, s4
	s_addc_u32 s3, s3, s5
	global_load_dword v3, v0, s[2:3]
	global_load_dword v4, v0, s[2:3] offset:32
	global_load_dword v5, v0, s[2:3] offset:64
	;; [unrolled: 1-line block ×7, first 2 shown]
	v_lshlrev_b32_e32 v2, 5, v2
	v_lshl_add_u32 v1, v1, 2, v2
	v_mov_b32_e32 v7, 0x3e8d42af
	s_mov_b32 s8, 0x3fb18a86
	s_mov_b32 s3, 0x3f49234e
	;; [unrolled: 1-line block ×5, first 2 shown]
	s_add_u32 s0, s0, s4
	s_addc_u32 s1, s1, s5
	s_waitcnt vmcnt(7)
	ds_write_b32 v0, v3
	s_waitcnt vmcnt(6)
	ds_write_b32 v0, v4 offset:32
	s_waitcnt vmcnt(5)
	ds_write_b32 v0, v5 offset:64
	;; [unrolled: 2-line block ×7, first 2 shown]
	ds_read_b96 v[2:4], v1
	ds_read_b32 v5, v1 offset:28
	ds_read2_b32 v[8:9], v1 offset0:5 offset1:6
	ds_read2_b32 v[10:11], v1 offset0:3 offset1:4
	s_waitcnt lgkmcnt(3)
	v_mov_b32_e32 v12, v3
	v_mov_b32_e32 v13, v4
	s_waitcnt lgkmcnt(2)
	v_add_f32_e32 v6, v2, v5
	v_sub_f32_e32 v20, v2, v5
	s_waitcnt lgkmcnt(1)
	v_sub_f32_e32 v22, v4, v8
	v_pk_add_f32 v[4:5], v[12:13], v[8:9] op_sel:[0,1] op_sel_hi:[1,0]
	v_sub_f32_e32 v21, v9, v3
	s_waitcnt lgkmcnt(0)
	v_pk_add_f32 v[2:3], v[10:11], v[10:11] op_sel:[0,1] op_sel_hi:[1,0]
	v_mov_b32_e32 v14, v5
	v_pk_add_f32 v[12:13], v[2:3], v[6:7]
	v_mul_f32_e32 v3, 0x3e8d42af, v21
	v_pk_add_f32 v[16:17], v[4:5], v[14:15] neg_lo:[0,1] neg_hi:[0,1]
	v_mul_f32_e32 v5, 0xbf968317, v21
	v_pk_add_f32 v[10:11], v[10:11], v[10:11] op_sel:[0,1] op_sel_hi:[1,0] neg_lo:[0,1] neg_hi:[0,1]
	v_sub_f32_e32 v8, v6, v2
	v_mul_f32_e32 v7, 0x3f49234e, v21
	v_fmac_f32_e32 v3, 0x3f968317, v20
	v_mul_f32_e32 v15, 0x3f49234e, v22
	v_fmac_f32_e32 v5, 0x3fb18a86, v20
	;; [unrolled: 2-line block ×3, first 2 shown]
	v_fmac_f32_e32 v3, 0xbfb18a86, v22
	v_mov_b32_e32 v17, v11
	v_pk_add_f32 v[14:15], v[4:5], v[14:15]
	v_mov_b32_e32 v9, v11
	v_fmac_f32_e32 v7, 0x3f968317, v22
	v_mul_f32_e32 v6, 0x3fa73d75, v16
	v_pk_fma_f32 v[2:3], v[16:17], s[2:3], v[2:3]
	s_mov_b32 s3, s8
	v_pk_add_f32 v[16:17], v[14:15], v[12:13]
	v_pk_fma_f32 v[18:19], v[10:11], s[6:7], v[14:15] neg_lo:[1,0,0] neg_hi:[1,0,0]
	v_mul_f32_e32 v13, 0x3fb18a86, v21
	v_pk_mul_f32 v[4:5], v[2:3], s[6:7] op_sel_hi:[1,0]
	v_pk_fma_f32 v[8:9], v[8:9], s[2:3], v[6:7] neg_lo:[0,0,1] neg_hi:[0,0,1]
	v_pk_fma_f32 v[2:3], v[10:11], s[2:3], v[6:7]
	v_mov_b32_e32 v17, v19
	v_fmac_f32_e32 v13, 0x3f49234e, v20
	v_mul_f32_e32 v15, 0x3f968317, v11
	v_mov_b32_e32 v9, v3
	v_pk_mul_f32 v[2:3], v[16:17], s[6:7] op_sel_hi:[1,0]
	v_fmac_f32_e32 v13, 0x3e8d42af, v22
	ds_write_b128 v1, v[2:5]
	v_pk_add_f32 v[2:3], v[12:13], v[14:15] neg_lo:[0,1] neg_hi:[0,1]
	v_pk_mul_f32 v[6:7], v[8:9], s[6:7] op_sel_hi:[1,0]
	v_pk_mul_f32 v[4:5], v[2:3], s[6:7] op_sel_hi:[1,0]
	ds_write_b128 v1, v[4:7] offset:16
	ds_read2_b32 v[2:3], v0 offset0:48 offset1:56
	ds_read2_b32 v[4:5], v0 offset1:8
	ds_read2_b32 v[6:7], v0 offset0:16 offset1:24
	ds_read2_b32 v[8:9], v0 offset0:32 offset1:40
	s_waitcnt lgkmcnt(2)
	v_add_f32_e32 v10, v5, v2
	v_sub_f32_e32 v2, v2, v5
	v_add_f32_e32 v1, v4, v3
	s_waitcnt lgkmcnt(0)
	v_add_f32_e32 v11, v6, v9
	v_add_f32_e32 v12, v7, v8
	v_sub_f32_e32 v3, v4, v3
	v_sub_f32_e32 v4, v6, v9
	v_mul_f32_e32 v9, 0xbf968317, v2
	v_add_f32_e32 v6, v1, v12
	v_sub_f32_e32 v1, v1, v12
	v_fmac_f32_e32 v9, 0x3fb18a86, v3
	v_sub_f32_e32 v5, v8, v7
	v_add_f32_e32 v7, v10, v11
	v_sub_f32_e32 v8, v10, v11
	v_mul_f32_e32 v11, 0x3fa73d75, v1
	v_fmac_f32_e32 v9, 0x3f49234e, v4
	v_add_f32_e32 v10, v7, v6
	v_sub_f32_e32 v6, v6, v7
	v_mul_f32_e32 v7, 0x3fa73d75, v8
	v_fmac_f32_e32 v11, 0x3f0a8bd4, v8
	v_fmac_f32_e32 v9, 0xbe8d42af, v5
	v_fma_f32 v1, v1, s2, -v7
	v_mul_f32_e32 v7, 0x3eb504f3, v11
	v_mul_f32_e32 v8, 0x3eb504f3, v9
	v_mul_f32_e32 v9, 0x3e8d42af, v2
	v_mul_f32_e32 v11, 0x3fb18a86, v2
	v_mul_f32_e32 v2, 0x3f49234e, v2
	v_fmac_f32_e32 v9, 0x3f968317, v3
	v_fmac_f32_e32 v11, 0x3f49234e, v3
	;; [unrolled: 1-line block ×9, first 2 shown]
	v_mul_f32_e32 v10, 0x3eb504f3, v10
	v_mul_f32_e32 v6, 0x3eb504f3, v6
	;; [unrolled: 1-line block ×5, first 2 shown]
	ds_write_b32 v0, v10
	ds_write_b32 v0, v6 offset:128
	v_mul_f32_e32 v1, 0x3eb504f3, v1
	ds_write_b32 v0, v7 offset:64
	ds_write_b32 v0, v1 offset:192
	;; [unrolled: 1-line block ×6, first 2 shown]
	global_store_dword v0, v10, s[0:1]
	global_store_dword v0, v8, s[0:1] offset:32
	global_store_dword v0, v7, s[0:1] offset:64
	global_store_dword v0, v9, s[0:1] offset:96
	global_store_dword v0, v6, s[0:1] offset:128
	global_store_dword v0, v11, s[0:1] offset:160
	global_store_dword v0, v1, s[0:1] offset:192
	global_store_dword v0, v2, s[0:1] offset:224
.LBB0_2:
	s_endpgm
	.section	.rodata,"a",@progbits
	.p2align	6, 0x0
	.amdhsa_kernel _Z8DCT2D8x8PfPKfj
		.amdhsa_group_segment_fixed_size 4128
		.amdhsa_private_segment_fixed_size 0
		.amdhsa_kernarg_size 20
		.amdhsa_user_sgpr_count 6
		.amdhsa_user_sgpr_private_segment_buffer 1
		.amdhsa_user_sgpr_dispatch_ptr 0
		.amdhsa_user_sgpr_queue_ptr 0
		.amdhsa_user_sgpr_kernarg_segment_ptr 1
		.amdhsa_user_sgpr_dispatch_id 0
		.amdhsa_user_sgpr_flat_scratch_init 0
		.amdhsa_user_sgpr_kernarg_preload_length 0
		.amdhsa_user_sgpr_kernarg_preload_offset 0
		.amdhsa_user_sgpr_private_segment_size 0
		.amdhsa_uses_dynamic_stack 0
		.amdhsa_system_sgpr_private_segment_wavefront_offset 0
		.amdhsa_system_sgpr_workgroup_id_x 1
		.amdhsa_system_sgpr_workgroup_id_y 0
		.amdhsa_system_sgpr_workgroup_id_z 0
		.amdhsa_system_sgpr_workgroup_info 0
		.amdhsa_system_vgpr_workitem_id 1
		.amdhsa_next_free_vgpr 23
		.amdhsa_next_free_sgpr 9
		.amdhsa_accum_offset 24
		.amdhsa_reserve_vcc 1
		.amdhsa_reserve_flat_scratch 0
		.amdhsa_float_round_mode_32 0
		.amdhsa_float_round_mode_16_64 0
		.amdhsa_float_denorm_mode_32 3
		.amdhsa_float_denorm_mode_16_64 3
		.amdhsa_dx10_clamp 1
		.amdhsa_ieee_mode 1
		.amdhsa_fp16_overflow 0
		.amdhsa_tg_split 0
		.amdhsa_exception_fp_ieee_invalid_op 0
		.amdhsa_exception_fp_denorm_src 0
		.amdhsa_exception_fp_ieee_div_zero 0
		.amdhsa_exception_fp_ieee_overflow 0
		.amdhsa_exception_fp_ieee_underflow 0
		.amdhsa_exception_fp_ieee_inexact 0
		.amdhsa_exception_int_div_zero 0
	.end_amdhsa_kernel
	.text
.Lfunc_end0:
	.size	_Z8DCT2D8x8PfPKfj, .Lfunc_end0-_Z8DCT2D8x8PfPKfj
                                        ; -- End function
	.section	.AMDGPU.csdata,"",@progbits
; Kernel info:
; codeLenInByte = 1136
; NumSgprs: 13
; NumVgprs: 23
; NumAgprs: 0
; TotalNumVgprs: 23
; ScratchSize: 0
; MemoryBound: 0
; FloatMode: 240
; IeeeMode: 1
; LDSByteSize: 4128 bytes/workgroup (compile time only)
; SGPRBlocks: 1
; VGPRBlocks: 2
; NumSGPRsForWavesPerEU: 13
; NumVGPRsForWavesPerEU: 23
; AccumOffset: 24
; Occupancy: 8
; WaveLimiterHint : 0
; COMPUTE_PGM_RSRC2:SCRATCH_EN: 0
; COMPUTE_PGM_RSRC2:USER_SGPR: 6
; COMPUTE_PGM_RSRC2:TRAP_HANDLER: 0
; COMPUTE_PGM_RSRC2:TGID_X_EN: 1
; COMPUTE_PGM_RSRC2:TGID_Y_EN: 0
; COMPUTE_PGM_RSRC2:TGID_Z_EN: 0
; COMPUTE_PGM_RSRC2:TIDIG_COMP_CNT: 1
; COMPUTE_PGM_RSRC3_GFX90A:ACCUM_OFFSET: 5
; COMPUTE_PGM_RSRC3_GFX90A:TG_SPLIT: 0
	.text
	.protected	_Z9IDCT2D8x8PfPKfj      ; -- Begin function _Z9IDCT2D8x8PfPKfj
	.globl	_Z9IDCT2D8x8PfPKfj
	.p2align	8
	.type	_Z9IDCT2D8x8PfPKfj,@function
_Z9IDCT2D8x8PfPKfj:                     ; @_Z9IDCT2D8x8PfPKfj
; %bb.0:
	s_load_dword s0, s[4:5], 0x10
	v_bfe_u32 v1, v0, 10, 10
	s_lshl_b32 s6, s6, 10
	v_lshlrev_b32_e32 v1, 6, v1
	v_add_u32_e32 v2, s6, v1
	v_or_b32_e32 v2, 63, v2
	s_waitcnt lgkmcnt(0)
	v_cmp_gt_u32_e32 vcc, s0, v2
	s_and_saveexec_b64 s[0:1], vcc
	s_cbranch_execz .LBB1_2
; %bb.1:
	s_load_dwordx4 s[0:3], s[4:5], 0x0
	s_mov_b32 s7, 0
	s_lshl_b64 s[4:5], s[6:7], 2
	v_and_b32_e32 v0, 0x3ff, v0
	v_add_lshl_u32 v13, v1, v0, 2
	s_waitcnt lgkmcnt(0)
	s_add_u32 s2, s2, s4
	s_addc_u32 s3, s3, s5
	global_load_dword v2, v13, s[2:3]
	global_load_dword v3, v13, s[2:3] offset:32
	global_load_dword v4, v13, s[2:3] offset:64
	global_load_dword v5, v13, s[2:3] offset:96
	global_load_dword v6, v13, s[2:3] offset:128
	global_load_dword v7, v13, s[2:3] offset:160
	global_load_dword v8, v13, s[2:3] offset:192
	global_load_dword v9, v13, s[2:3] offset:224
	v_lshlrev_b32_e32 v0, 5, v0
	v_lshl_add_u32 v18, v1, 2, v0
	s_mov_b32 s3, 0x3f0a8bd4
	s_mov_b32 s6, 0x3f968317
	;; [unrolled: 1-line block ×3, first 2 shown]
	s_add_u32 s0, s0, s4
	s_addc_u32 s1, s1, s5
	s_waitcnt vmcnt(7)
	ds_write_b32 v13, v2
	s_waitcnt vmcnt(6)
	ds_write_b32 v13, v3 offset:32
	s_waitcnt vmcnt(5)
	ds_write_b32 v13, v4 offset:64
	;; [unrolled: 2-line block ×7, first 2 shown]
	ds_read_b128 v[0:3], v18
	ds_read_b128 v[4:7], v18 offset:16
	s_waitcnt lgkmcnt(1)
	v_mul_f32_e32 v19, 0x3fb18a86, v1
	v_mul_f32_e32 v12, 0xbe8d42af, v1
	;; [unrolled: 1-line block ×3, first 2 shown]
	s_waitcnt lgkmcnt(0)
	v_mul_f32_e32 v11, 0x3f0a8bd4, v6
	v_mov_b32_e32 v8, v0
	v_mov_b32_e32 v10, v4
	v_mul_f32_e32 v6, 0x3fa73d75, v6
	v_mul_f32_e32 v16, 0x3f49234e, v7
	v_fmac_f32_e32 v19, 0x3e8d42af, v7
	v_fmac_f32_e32 v12, 0x3fb18a86, v7
	v_mul_f32_e32 v20, 0x3fb18a86, v3
	v_pk_add_f32 v[8:9], v[8:9], v[10:11]
	v_fma_f32 v15, v2, s3, -v6
	v_fma_f32 v2, v1, s6, -v16
	v_mul_f32_e32 v1, 0x3f49234e, v1
	v_fmac_f32_e32 v19, 0x3f968317, v3
	v_fmac_f32_e32 v12, 0x3f49234e, v3
	v_mul_f32_e32 v14, 0x3fb18a86, v5
	v_mul_f32_e32 v17, 0x3e8d42af, v5
	v_mov_b32_e32 v6, v9
	v_add_f32_e32 v10, v8, v9
	v_fmac_f32_e32 v1, 0x3f968317, v7
	v_fmac_f32_e32 v19, 0x3f49234e, v5
	;; [unrolled: 1-line block ×3, first 2 shown]
	v_mov_b32_e32 v5, v20
	v_fmac_f32_e32 v2, 0xbe8d42af, v3
	v_pk_add_f32 v[6:7], v[8:9], v[6:7] neg_lo:[0,1] neg_hi:[0,1]
	v_add_f32_e32 v3, v10, v19
	v_pk_add_f32 v[4:5], v[0:1], v[4:5] neg_lo:[0,1] neg_hi:[0,1]
	v_mov_b32_e32 v16, v15
	v_pk_add_f32 v[8:9], v[6:7], v[12:13] neg_lo:[0,1] neg_hi:[0,1]
	v_pk_add_f32 v[6:7], v[6:7], v[12:13]
	v_mul_f32_e32 v0, 0x3eb504f3, v3
	v_mov_b32_e32 v3, v4
	v_sub_f32_e32 v10, v10, v19
	v_mov_b32_e32 v9, v6
	v_pk_add_f32 v[4:5], v[4:5], v[16:17]
	v_pk_add_f32 v[2:3], v[2:3], v[14:15] neg_lo:[0,1] neg_hi:[0,1]
	v_mul_f32_e32 v1, 0x3eb504f3, v10
	v_pk_mul_f32 v[6:7], v[8:9], s[2:3] op_sel_hi:[1,0]
	v_mov_b32_e32 v9, v4
	v_mov_b32_e32 v10, v5
	v_pk_add_f32 v[4:5], v[4:5], v[2:3]
	v_mov_b32_e32 v8, v3
	v_mov_b32_e32 v11, v2
	v_pk_mul_f32 v[2:3], v[4:5], s[2:3] op_sel_hi:[1,0]
	ds_write_b32 v18, v1 offset:28
	v_pk_add_f32 v[4:5], v[8:9], v[10:11] neg_lo:[0,1] neg_hi:[0,1]
	v_mov_b32_e32 v1, v2
	v_mov_b32_e32 v2, v3
	ds_write2_b32 v18, v6, v7 offset0:3 offset1:4
	v_pk_mul_f32 v[4:5], v[4:5], s[2:3] op_sel_hi:[1,0]
	ds_write_b96 v18, v[0:2]
	ds_write2_b32 v18, v4, v5 offset0:5 offset1:6
	ds_read2_b32 v[0:1], v13 offset0:32 offset1:40
	ds_read2_b32 v[2:3], v13 offset1:8
	ds_read2_b32 v[4:5], v13 offset0:48 offset1:56
	ds_read2_b32 v[6:7], v13 offset0:16 offset1:24
	s_waitcnt lgkmcnt(2)
	v_add_f32_e32 v8, v2, v0
	s_waitcnt lgkmcnt(1)
	v_mul_f32_e32 v9, 0x3f0a8bd4, v4
	v_mul_f32_e32 v10, 0x3fb18a86, v3
	;; [unrolled: 1-line block ×3, first 2 shown]
	v_sub_f32_e32 v0, v2, v0
	v_mul_f32_e32 v2, 0x3fa73d75, v4
	v_mul_f32_e32 v4, 0x3f49234e, v5
	;; [unrolled: 1-line block ×3, first 2 shown]
	v_fmac_f32_e32 v10, 0x3e8d42af, v5
	v_fmac_f32_e32 v11, 0x3fb18a86, v5
	v_fma_f32 v3, v3, s6, -v4
	v_fmac_f32_e32 v12, 0x3f968317, v5
	s_waitcnt lgkmcnt(0)
	v_fmac_f32_e32 v9, 0x3fa73d75, v6
	v_fma_f32 v2, v6, s3, -v2
	v_fmac_f32_e32 v10, 0x3f968317, v7
	v_fmac_f32_e32 v11, 0x3f49234e, v7
	;; [unrolled: 1-line block ×4, first 2 shown]
	v_add_f32_e32 v4, v8, v9
	v_sub_f32_e32 v6, v8, v9
	v_add_f32_e32 v8, v0, v2
	v_sub_f32_e32 v0, v0, v2
	v_fmac_f32_e32 v10, 0x3f49234e, v1
	v_fmac_f32_e32 v11, 0xbf968317, v1
	;; [unrolled: 1-line block ×4, first 2 shown]
	v_add_f32_e32 v1, v4, v10
	v_sub_f32_e32 v2, v4, v10
	v_add_f32_e32 v4, v6, v11
	v_sub_f32_e32 v5, v6, v11
	;; [unrolled: 2-line block ×4, first 2 shown]
	v_mul_f32_e32 v1, 0x3eb504f3, v1
	v_mul_f32_e32 v2, 0x3eb504f3, v2
	v_mul_f32_e32 v4, 0x3eb504f3, v4
	v_mul_f32_e32 v5, 0x3eb504f3, v5
	v_mul_f32_e32 v6, 0x3eb504f3, v6
	v_mul_f32_e32 v7, 0x3eb504f3, v7
	v_mul_f32_e32 v0, 0x3eb504f3, v0
	v_mul_f32_e32 v3, 0x3eb504f3, v3
	ds_write_b32 v13, v1
	ds_write_b32 v13, v2 offset:224
	ds_write_b32 v13, v4 offset:128
	;; [unrolled: 1-line block ×7, first 2 shown]
	global_store_dword v13, v1, s[0:1]
	global_store_dword v13, v6, s[0:1] offset:32
	global_store_dword v13, v0, s[0:1] offset:64
	;; [unrolled: 1-line block ×7, first 2 shown]
.LBB1_2:
	s_endpgm
	.section	.rodata,"a",@progbits
	.p2align	6, 0x0
	.amdhsa_kernel _Z9IDCT2D8x8PfPKfj
		.amdhsa_group_segment_fixed_size 4128
		.amdhsa_private_segment_fixed_size 0
		.amdhsa_kernarg_size 20
		.amdhsa_user_sgpr_count 6
		.amdhsa_user_sgpr_private_segment_buffer 1
		.amdhsa_user_sgpr_dispatch_ptr 0
		.amdhsa_user_sgpr_queue_ptr 0
		.amdhsa_user_sgpr_kernarg_segment_ptr 1
		.amdhsa_user_sgpr_dispatch_id 0
		.amdhsa_user_sgpr_flat_scratch_init 0
		.amdhsa_user_sgpr_kernarg_preload_length 0
		.amdhsa_user_sgpr_kernarg_preload_offset 0
		.amdhsa_user_sgpr_private_segment_size 0
		.amdhsa_uses_dynamic_stack 0
		.amdhsa_system_sgpr_private_segment_wavefront_offset 0
		.amdhsa_system_sgpr_workgroup_id_x 1
		.amdhsa_system_sgpr_workgroup_id_y 0
		.amdhsa_system_sgpr_workgroup_id_z 0
		.amdhsa_system_sgpr_workgroup_info 0
		.amdhsa_system_vgpr_workitem_id 1
		.amdhsa_next_free_vgpr 21
		.amdhsa_next_free_sgpr 8
		.amdhsa_accum_offset 24
		.amdhsa_reserve_vcc 1
		.amdhsa_reserve_flat_scratch 0
		.amdhsa_float_round_mode_32 0
		.amdhsa_float_round_mode_16_64 0
		.amdhsa_float_denorm_mode_32 3
		.amdhsa_float_denorm_mode_16_64 3
		.amdhsa_dx10_clamp 1
		.amdhsa_ieee_mode 1
		.amdhsa_fp16_overflow 0
		.amdhsa_tg_split 0
		.amdhsa_exception_fp_ieee_invalid_op 0
		.amdhsa_exception_fp_denorm_src 0
		.amdhsa_exception_fp_ieee_div_zero 0
		.amdhsa_exception_fp_ieee_overflow 0
		.amdhsa_exception_fp_ieee_underflow 0
		.amdhsa_exception_fp_ieee_inexact 0
		.amdhsa_exception_int_div_zero 0
	.end_amdhsa_kernel
	.text
.Lfunc_end1:
	.size	_Z9IDCT2D8x8PfPKfj, .Lfunc_end1-_Z9IDCT2D8x8PfPKfj
                                        ; -- End function
	.section	.AMDGPU.csdata,"",@progbits
; Kernel info:
; codeLenInByte = 1144
; NumSgprs: 12
; NumVgprs: 21
; NumAgprs: 0
; TotalNumVgprs: 21
; ScratchSize: 0
; MemoryBound: 0
; FloatMode: 240
; IeeeMode: 1
; LDSByteSize: 4128 bytes/workgroup (compile time only)
; SGPRBlocks: 1
; VGPRBlocks: 2
; NumSGPRsForWavesPerEU: 12
; NumVGPRsForWavesPerEU: 21
; AccumOffset: 24
; Occupancy: 8
; WaveLimiterHint : 0
; COMPUTE_PGM_RSRC2:SCRATCH_EN: 0
; COMPUTE_PGM_RSRC2:USER_SGPR: 6
; COMPUTE_PGM_RSRC2:TRAP_HANDLER: 0
; COMPUTE_PGM_RSRC2:TGID_X_EN: 1
; COMPUTE_PGM_RSRC2:TGID_Y_EN: 0
; COMPUTE_PGM_RSRC2:TGID_Z_EN: 0
; COMPUTE_PGM_RSRC2:TIDIG_COMP_CNT: 1
; COMPUTE_PGM_RSRC3_GFX90A:ACCUM_OFFSET: 5
; COMPUTE_PGM_RSRC3_GFX90A:TG_SPLIT: 0
	.text
	.p2alignl 6, 3212836864
	.fill 256, 4, 3212836864
	.type	__hip_cuid_40ab523d6f883743,@object ; @__hip_cuid_40ab523d6f883743
	.section	.bss,"aw",@nobits
	.globl	__hip_cuid_40ab523d6f883743
__hip_cuid_40ab523d6f883743:
	.byte	0                               ; 0x0
	.size	__hip_cuid_40ab523d6f883743, 1

	.ident	"AMD clang version 19.0.0git (https://github.com/RadeonOpenCompute/llvm-project roc-6.4.0 25133 c7fe45cf4b819c5991fe208aaa96edf142730f1d)"
	.section	".note.GNU-stack","",@progbits
	.addrsig
	.addrsig_sym __hip_cuid_40ab523d6f883743
	.amdgpu_metadata
---
amdhsa.kernels:
  - .agpr_count:     0
    .args:
      - .actual_access:  write_only
        .address_space:  global
        .offset:         0
        .size:           8
        .value_kind:     global_buffer
      - .actual_access:  read_only
        .address_space:  global
        .offset:         8
        .size:           8
        .value_kind:     global_buffer
      - .offset:         16
        .size:           4
        .value_kind:     by_value
    .group_segment_fixed_size: 4128
    .kernarg_segment_align: 8
    .kernarg_segment_size: 20
    .language:       OpenCL C
    .language_version:
      - 2
      - 0
    .max_flat_workgroup_size: 1024
    .name:           _Z8DCT2D8x8PfPKfj
    .private_segment_fixed_size: 0
    .sgpr_count:     13
    .sgpr_spill_count: 0
    .symbol:         _Z8DCT2D8x8PfPKfj.kd
    .uniform_work_group_size: 1
    .uses_dynamic_stack: false
    .vgpr_count:     23
    .vgpr_spill_count: 0
    .wavefront_size: 64
  - .agpr_count:     0
    .args:
      - .actual_access:  write_only
        .address_space:  global
        .offset:         0
        .size:           8
        .value_kind:     global_buffer
      - .actual_access:  read_only
        .address_space:  global
        .offset:         8
        .size:           8
        .value_kind:     global_buffer
      - .offset:         16
        .size:           4
        .value_kind:     by_value
    .group_segment_fixed_size: 4128
    .kernarg_segment_align: 8
    .kernarg_segment_size: 20
    .language:       OpenCL C
    .language_version:
      - 2
      - 0
    .max_flat_workgroup_size: 1024
    .name:           _Z9IDCT2D8x8PfPKfj
    .private_segment_fixed_size: 0
    .sgpr_count:     12
    .sgpr_spill_count: 0
    .symbol:         _Z9IDCT2D8x8PfPKfj.kd
    .uniform_work_group_size: 1
    .uses_dynamic_stack: false
    .vgpr_count:     21
    .vgpr_spill_count: 0
    .wavefront_size: 64
amdhsa.target:   amdgcn-amd-amdhsa--gfx90a
amdhsa.version:
  - 1
  - 2
...

	.end_amdgpu_metadata
